;; amdgpu-corpus repo=ROCm/rocFFT kind=compiled arch=gfx906 opt=O3
	.text
	.amdgcn_target "amdgcn-amd-amdhsa--gfx906"
	.amdhsa_code_object_version 6
	.protected	fft_rtc_back_len210_factors_10_7_3_wgs_60_tpt_30_sp_op_CI_CI_unitstride_sbrr_dirReg ; -- Begin function fft_rtc_back_len210_factors_10_7_3_wgs_60_tpt_30_sp_op_CI_CI_unitstride_sbrr_dirReg
	.globl	fft_rtc_back_len210_factors_10_7_3_wgs_60_tpt_30_sp_op_CI_CI_unitstride_sbrr_dirReg
	.p2align	8
	.type	fft_rtc_back_len210_factors_10_7_3_wgs_60_tpt_30_sp_op_CI_CI_unitstride_sbrr_dirReg,@function
fft_rtc_back_len210_factors_10_7_3_wgs_60_tpt_30_sp_op_CI_CI_unitstride_sbrr_dirReg: ; @fft_rtc_back_len210_factors_10_7_3_wgs_60_tpt_30_sp_op_CI_CI_unitstride_sbrr_dirReg
; %bb.0:
	s_load_dwordx4 s[8:11], s[4:5], 0x58
	s_load_dwordx4 s[12:15], s[4:5], 0x0
	;; [unrolled: 1-line block ×3, first 2 shown]
	v_mul_u32_u24_e32 v1, 0x889, v0
	v_lshrrev_b32_e32 v7, 16, v1
	v_mov_b32_e32 v3, 0
	s_waitcnt lgkmcnt(0)
	v_cmp_lt_u64_e64 s[0:1], s[14:15], 2
	v_mov_b32_e32 v1, 0
	v_lshl_add_u32 v5, s6, 1, v7
	v_mov_b32_e32 v6, v3
	s_and_b64 vcc, exec, s[0:1]
	v_mov_b32_e32 v2, 0
	s_cbranch_vccnz .LBB0_8
; %bb.1:
	s_load_dwordx2 s[0:1], s[4:5], 0x10
	s_add_u32 s2, s18, 8
	s_addc_u32 s3, s19, 0
	s_add_u32 s6, s16, 8
	v_mov_b32_e32 v1, 0
	s_addc_u32 s7, s17, 0
	v_mov_b32_e32 v2, 0
	s_waitcnt lgkmcnt(0)
	s_add_u32 s20, s0, 8
	v_mov_b32_e32 v21, v2
	s_addc_u32 s21, s1, 0
	s_mov_b64 s[22:23], 1
	v_mov_b32_e32 v20, v1
.LBB0_2:                                ; =>This Inner Loop Header: Depth=1
	s_load_dwordx2 s[24:25], s[20:21], 0x0
                                        ; implicit-def: $vgpr22_vgpr23
	s_waitcnt lgkmcnt(0)
	v_or_b32_e32 v4, s25, v6
	v_cmp_ne_u64_e32 vcc, 0, v[3:4]
	s_and_saveexec_b64 s[0:1], vcc
	s_xor_b64 s[26:27], exec, s[0:1]
	s_cbranch_execz .LBB0_4
; %bb.3:                                ;   in Loop: Header=BB0_2 Depth=1
	v_cvt_f32_u32_e32 v4, s24
	v_cvt_f32_u32_e32 v8, s25
	s_sub_u32 s0, 0, s24
	s_subb_u32 s1, 0, s25
	v_mac_f32_e32 v4, 0x4f800000, v8
	v_rcp_f32_e32 v4, v4
	v_mul_f32_e32 v4, 0x5f7ffffc, v4
	v_mul_f32_e32 v8, 0x2f800000, v4
	v_trunc_f32_e32 v8, v8
	v_mac_f32_e32 v4, 0xcf800000, v8
	v_cvt_u32_f32_e32 v8, v8
	v_cvt_u32_f32_e32 v4, v4
	v_mul_lo_u32 v9, s0, v8
	v_mul_hi_u32 v10, s0, v4
	v_mul_lo_u32 v12, s1, v4
	v_mul_lo_u32 v11, s0, v4
	v_add_u32_e32 v9, v10, v9
	v_add_u32_e32 v9, v9, v12
	v_mul_hi_u32 v10, v4, v11
	v_mul_lo_u32 v12, v4, v9
	v_mul_hi_u32 v14, v4, v9
	v_mul_hi_u32 v13, v8, v11
	v_mul_lo_u32 v11, v8, v11
	v_mul_hi_u32 v15, v8, v9
	v_add_co_u32_e32 v10, vcc, v10, v12
	v_addc_co_u32_e32 v12, vcc, 0, v14, vcc
	v_mul_lo_u32 v9, v8, v9
	v_add_co_u32_e32 v10, vcc, v10, v11
	v_addc_co_u32_e32 v10, vcc, v12, v13, vcc
	v_addc_co_u32_e32 v11, vcc, 0, v15, vcc
	v_add_co_u32_e32 v9, vcc, v10, v9
	v_addc_co_u32_e32 v10, vcc, 0, v11, vcc
	v_add_co_u32_e32 v4, vcc, v4, v9
	v_addc_co_u32_e32 v8, vcc, v8, v10, vcc
	v_mul_lo_u32 v9, s0, v8
	v_mul_hi_u32 v10, s0, v4
	v_mul_lo_u32 v11, s1, v4
	v_mul_lo_u32 v12, s0, v4
	v_add_u32_e32 v9, v10, v9
	v_add_u32_e32 v9, v9, v11
	v_mul_lo_u32 v13, v4, v9
	v_mul_hi_u32 v14, v4, v12
	v_mul_hi_u32 v15, v4, v9
	;; [unrolled: 1-line block ×3, first 2 shown]
	v_mul_lo_u32 v12, v8, v12
	v_mul_hi_u32 v10, v8, v9
	v_add_co_u32_e32 v13, vcc, v14, v13
	v_addc_co_u32_e32 v14, vcc, 0, v15, vcc
	v_mul_lo_u32 v9, v8, v9
	v_add_co_u32_e32 v12, vcc, v13, v12
	v_addc_co_u32_e32 v11, vcc, v14, v11, vcc
	v_addc_co_u32_e32 v10, vcc, 0, v10, vcc
	v_add_co_u32_e32 v9, vcc, v11, v9
	v_addc_co_u32_e32 v10, vcc, 0, v10, vcc
	v_add_co_u32_e32 v4, vcc, v4, v9
	v_addc_co_u32_e32 v10, vcc, v8, v10, vcc
	v_mad_u64_u32 v[8:9], s[0:1], v5, v10, 0
	v_mul_hi_u32 v11, v5, v4
	v_add_co_u32_e32 v12, vcc, v11, v8
	v_addc_co_u32_e32 v13, vcc, 0, v9, vcc
	v_mad_u64_u32 v[8:9], s[0:1], v6, v4, 0
	v_mad_u64_u32 v[10:11], s[0:1], v6, v10, 0
	v_add_co_u32_e32 v4, vcc, v12, v8
	v_addc_co_u32_e32 v4, vcc, v13, v9, vcc
	v_addc_co_u32_e32 v8, vcc, 0, v11, vcc
	v_add_co_u32_e32 v4, vcc, v4, v10
	v_addc_co_u32_e32 v10, vcc, 0, v8, vcc
	v_mul_lo_u32 v11, s25, v4
	v_mul_lo_u32 v12, s24, v10
	v_mad_u64_u32 v[8:9], s[0:1], s24, v4, 0
	v_add3_u32 v9, v9, v12, v11
	v_sub_u32_e32 v11, v6, v9
	v_mov_b32_e32 v12, s25
	v_sub_co_u32_e32 v8, vcc, v5, v8
	v_subb_co_u32_e64 v11, s[0:1], v11, v12, vcc
	v_subrev_co_u32_e64 v12, s[0:1], s24, v8
	v_subbrev_co_u32_e64 v11, s[0:1], 0, v11, s[0:1]
	v_cmp_le_u32_e64 s[0:1], s25, v11
	v_cndmask_b32_e64 v13, 0, -1, s[0:1]
	v_cmp_le_u32_e64 s[0:1], s24, v12
	v_cndmask_b32_e64 v12, 0, -1, s[0:1]
	v_cmp_eq_u32_e64 s[0:1], s25, v11
	v_cndmask_b32_e64 v11, v13, v12, s[0:1]
	v_add_co_u32_e64 v12, s[0:1], 2, v4
	v_addc_co_u32_e64 v13, s[0:1], 0, v10, s[0:1]
	v_add_co_u32_e64 v14, s[0:1], 1, v4
	v_addc_co_u32_e64 v15, s[0:1], 0, v10, s[0:1]
	v_subb_co_u32_e32 v9, vcc, v6, v9, vcc
	v_cmp_ne_u32_e64 s[0:1], 0, v11
	v_cmp_le_u32_e32 vcc, s25, v9
	v_cndmask_b32_e64 v11, v15, v13, s[0:1]
	v_cndmask_b32_e64 v13, 0, -1, vcc
	v_cmp_le_u32_e32 vcc, s24, v8
	v_cndmask_b32_e64 v8, 0, -1, vcc
	v_cmp_eq_u32_e32 vcc, s25, v9
	v_cndmask_b32_e32 v8, v13, v8, vcc
	v_cmp_ne_u32_e32 vcc, 0, v8
	v_cndmask_b32_e64 v8, v14, v12, s[0:1]
	v_cndmask_b32_e32 v23, v10, v11, vcc
	v_cndmask_b32_e32 v22, v4, v8, vcc
.LBB0_4:                                ;   in Loop: Header=BB0_2 Depth=1
	s_andn2_saveexec_b64 s[0:1], s[26:27]
	s_cbranch_execz .LBB0_6
; %bb.5:                                ;   in Loop: Header=BB0_2 Depth=1
	v_cvt_f32_u32_e32 v4, s24
	s_sub_i32 s26, 0, s24
	v_mov_b32_e32 v23, v3
	v_rcp_iflag_f32_e32 v4, v4
	v_mul_f32_e32 v4, 0x4f7ffffe, v4
	v_cvt_u32_f32_e32 v4, v4
	v_mul_lo_u32 v8, s26, v4
	v_mul_hi_u32 v8, v4, v8
	v_add_u32_e32 v4, v4, v8
	v_mul_hi_u32 v4, v5, v4
	v_mul_lo_u32 v8, v4, s24
	v_add_u32_e32 v9, 1, v4
	v_sub_u32_e32 v8, v5, v8
	v_subrev_u32_e32 v10, s24, v8
	v_cmp_le_u32_e32 vcc, s24, v8
	v_cndmask_b32_e32 v8, v8, v10, vcc
	v_cndmask_b32_e32 v4, v4, v9, vcc
	v_add_u32_e32 v9, 1, v4
	v_cmp_le_u32_e32 vcc, s24, v8
	v_cndmask_b32_e32 v22, v4, v9, vcc
.LBB0_6:                                ;   in Loop: Header=BB0_2 Depth=1
	s_or_b64 exec, exec, s[0:1]
	v_mul_lo_u32 v4, v23, s24
	v_mul_lo_u32 v10, v22, s25
	v_mad_u64_u32 v[8:9], s[0:1], v22, s24, 0
	s_load_dwordx2 s[0:1], s[6:7], 0x0
	s_load_dwordx2 s[24:25], s[2:3], 0x0
	v_add3_u32 v4, v9, v10, v4
	v_sub_co_u32_e32 v5, vcc, v5, v8
	v_subb_co_u32_e32 v4, vcc, v6, v4, vcc
	s_waitcnt lgkmcnt(0)
	v_mul_lo_u32 v6, s0, v4
	v_mul_lo_u32 v8, s1, v5
	v_mad_u64_u32 v[1:2], s[0:1], s0, v5, v[1:2]
	v_mul_lo_u32 v4, s24, v4
	v_mul_lo_u32 v9, s25, v5
	v_mad_u64_u32 v[20:21], s[0:1], s24, v5, v[20:21]
	s_add_u32 s22, s22, 1
	s_addc_u32 s23, s23, 0
	s_add_u32 s2, s2, 8
	v_add3_u32 v21, v9, v21, v4
	s_addc_u32 s3, s3, 0
	v_mov_b32_e32 v4, s14
	s_add_u32 s6, s6, 8
	v_mov_b32_e32 v5, s15
	s_addc_u32 s7, s7, 0
	v_cmp_ge_u64_e32 vcc, s[22:23], v[4:5]
	s_add_u32 s20, s20, 8
	v_add3_u32 v2, v8, v2, v6
	s_addc_u32 s21, s21, 0
	s_cbranch_vccnz .LBB0_9
; %bb.7:                                ;   in Loop: Header=BB0_2 Depth=1
	v_mov_b32_e32 v5, v22
	v_mov_b32_e32 v6, v23
	s_branch .LBB0_2
.LBB0_8:
	v_mov_b32_e32 v21, v2
	v_mov_b32_e32 v23, v6
	;; [unrolled: 1-line block ×4, first 2 shown]
.LBB0_9:
	s_load_dwordx2 s[2:3], s[4:5], 0x28
	s_lshl_b64 s[6:7], s[14:15], 3
	s_add_u32 s4, s18, s6
	v_and_b32_e32 v3, 1, v7
	s_addc_u32 s5, s19, s7
	s_waitcnt lgkmcnt(0)
	v_cmp_gt_u64_e32 vcc, s[2:3], v[22:23]
	v_cmp_le_u64_e64 s[2:3], s[2:3], v[22:23]
	v_cmp_eq_u32_e64 s[0:1], 1, v3
	v_mov_b32_e32 v3, 0xd2
                                        ; implicit-def: $vgpr24
	s_and_saveexec_b64 s[14:15], s[2:3]
	s_xor_b64 s[2:3], exec, s[14:15]
; %bb.10:
	s_mov_b32 s14, 0x8888889
	v_mul_hi_u32 v1, v0, s14
	v_mul_u32_u24_e32 v1, 30, v1
	v_sub_u32_e32 v24, v0, v1
                                        ; implicit-def: $vgpr0
                                        ; implicit-def: $vgpr1_vgpr2
; %bb.11:
	s_or_saveexec_b64 s[2:3], s[2:3]
	v_cndmask_b32_e64 v31, 0, v3, s[0:1]
	v_lshlrev_b32_e32 v33, 3, v31
	s_xor_b64 exec, exec, s[2:3]
	s_cbranch_execz .LBB0_13
; %bb.12:
	s_add_u32 s0, s16, s6
	s_addc_u32 s1, s17, s7
	s_load_dwordx2 s[0:1], s[0:1], 0x0
	s_mov_b32 s6, 0x8888889
	v_mul_hi_u32 v5, v0, s6
	s_waitcnt lgkmcnt(0)
	v_mul_lo_u32 v6, s1, v22
	v_mul_lo_u32 v7, s0, v23
	v_mad_u64_u32 v[3:4], s[0:1], s0, v22, 0
	v_mul_u32_u24_e32 v5, 30, v5
	v_sub_u32_e32 v24, v0, v5
	v_add3_u32 v4, v4, v7, v6
	v_lshlrev_b64 v[3:4], 3, v[3:4]
	v_mov_b32_e32 v0, s9
	v_add_co_u32_e64 v3, s[0:1], s8, v3
	v_addc_co_u32_e64 v4, s[0:1], v0, v4, s[0:1]
	v_lshlrev_b64 v[0:1], 3, v[1:2]
	v_lshlrev_b32_e32 v16, 3, v24
	v_add_co_u32_e64 v0, s[0:1], v3, v0
	v_addc_co_u32_e64 v1, s[0:1], v4, v1, s[0:1]
	v_add_co_u32_e64 v0, s[0:1], v0, v16
	v_addc_co_u32_e64 v1, s[0:1], 0, v1, s[0:1]
	global_load_dwordx2 v[2:3], v[0:1], off
	global_load_dwordx2 v[4:5], v[0:1], off offset:240
	global_load_dwordx2 v[6:7], v[0:1], off offset:480
	;; [unrolled: 1-line block ×6, first 2 shown]
	v_add3_u32 v0, 0, v33, v16
	s_waitcnt vmcnt(5)
	ds_write2_b64 v0, v[2:3], v[4:5] offset1:30
	s_waitcnt vmcnt(3)
	ds_write2_b64 v0, v[6:7], v[8:9] offset0:60 offset1:90
	s_waitcnt vmcnt(1)
	ds_write2_b64 v0, v[10:11], v[12:13] offset0:120 offset1:150
	s_waitcnt vmcnt(0)
	ds_write_b64 v0, v[14:15] offset:1440
.LBB0_13:
	s_or_b64 exec, exec, s[2:3]
	v_lshlrev_b32_e32 v0, 3, v24
	v_add_u32_e32 v32, 0, v0
	v_add_u32_e32 v29, v32, v33
	;; [unrolled: 1-line block ×3, first 2 shown]
	s_waitcnt lgkmcnt(0)
	; wave barrier
	s_waitcnt lgkmcnt(0)
	ds_read2_b64 v[4:7], v29 offset0:21 offset1:42
	ds_read2_b64 v[8:11], v29 offset0:63 offset1:84
	;; [unrolled: 1-line block ×4, first 2 shown]
	v_add_u32_e32 v34, v30, v0
	ds_read_b64 v[27:28], v34
	s_waitcnt lgkmcnt(3)
	v_sub_f32_e32 v1, v10, v6
	s_waitcnt lgkmcnt(2)
	v_sub_f32_e32 v37, v11, v15
	;; [unrolled: 2-line block ×3, first 2 shown]
	v_add_f32_e32 v3, v6, v18
	v_add_f32_e32 v2, v1, v0
	ds_read_b64 v[0:1], v29 offset:1512
	s_waitcnt lgkmcnt(1)
	v_fma_f32 v35, -0.5, v3, v27
	v_mov_b32_e32 v36, v35
	v_fmac_f32_e32 v36, 0x3f737871, v37
	v_sub_f32_e32 v38, v7, v19
	v_fmac_f32_e32 v35, 0xbf737871, v37
	v_fmac_f32_e32 v36, 0xbf167918, v38
	;; [unrolled: 1-line block ×5, first 2 shown]
	v_sub_f32_e32 v2, v11, v7
	v_sub_f32_e32 v3, v15, v19
	v_add_f32_e32 v2, v2, v3
	v_add_f32_e32 v3, v7, v19
	v_fma_f32 v39, -0.5, v3, v28
	v_sub_f32_e32 v42, v10, v14
	v_mov_b32_e32 v40, v39
	v_fmac_f32_e32 v40, 0xbf737871, v42
	v_sub_f32_e32 v43, v6, v18
	v_fmac_f32_e32 v39, 0x3f737871, v42
	v_fmac_f32_e32 v40, 0x3f167918, v43
	;; [unrolled: 1-line block ×5, first 2 shown]
	v_sub_f32_e32 v2, v12, v8
	s_waitcnt lgkmcnt(0)
	v_sub_f32_e32 v3, v16, v0
	v_add_f32_e32 v2, v2, v3
	v_add_f32_e32 v3, v8, v0
	v_fma_f32 v3, -0.5, v3, v4
	v_sub_f32_e32 v47, v13, v17
	v_mov_b32_e32 v25, v3
	v_fmac_f32_e32 v25, 0x3f737871, v47
	v_sub_f32_e32 v48, v9, v1
	v_fmac_f32_e32 v3, 0xbf737871, v47
	v_fmac_f32_e32 v25, 0xbf167918, v48
	;; [unrolled: 1-line block ×5, first 2 shown]
	v_sub_f32_e32 v2, v13, v9
	v_sub_f32_e32 v26, v17, v1
	v_add_f32_e32 v2, v2, v26
	v_add_f32_e32 v26, v9, v1
	v_fma_f32 v26, -0.5, v26, v5
	v_sub_f32_e32 v49, v12, v16
	v_mov_b32_e32 v44, v26
	v_fmac_f32_e32 v44, 0xbf737871, v49
	v_sub_f32_e32 v50, v8, v0
	v_fmac_f32_e32 v26, 0x3f737871, v49
	v_fmac_f32_e32 v44, 0x3f167918, v50
	;; [unrolled: 1-line block ×5, first 2 shown]
	v_mul_f32_e32 v41, 0xbf737871, v44
	v_mul_f32_e32 v45, 0x3e9e377a, v44
	;; [unrolled: 1-line block ×4, first 2 shown]
	v_fmac_f32_e32 v41, 0x3e9e377a, v25
	v_fmac_f32_e32 v45, 0x3f737871, v25
	;; [unrolled: 1-line block ×4, first 2 shown]
	v_sub_f32_e32 v2, v36, v41
	v_sub_f32_e32 v3, v40, v45
	;; [unrolled: 1-line block ×4, first 2 shown]
	v_cmp_gt_u32_e64 s[0:1], 21, v24
	s_waitcnt lgkmcnt(0)
	; wave barrier
	s_and_saveexec_b64 s[2:3], s[0:1]
	s_cbranch_execz .LBB0_15
; %bb.14:
	v_sub_f32_e32 v51, v7, v11
	v_sub_f32_e32 v52, v19, v15
	v_add_f32_e32 v52, v51, v52
	v_add_f32_e32 v51, v11, v15
	v_fma_f32 v53, -0.5, v51, v28
	v_sub_f32_e32 v51, v8, v12
	v_sub_f32_e32 v55, v0, v16
	v_add_f32_e32 v55, v51, v55
	v_add_f32_e32 v51, v12, v16
	v_fma_f32 v56, -0.5, v51, v4
	v_sub_f32_e32 v51, v9, v13
	v_sub_f32_e32 v58, v1, v17
	v_add_f32_e32 v58, v51, v58
	v_add_f32_e32 v51, v13, v17
	v_fma_f32 v59, -0.5, v51, v5
	v_add_f32_e32 v7, v28, v7
	v_add_f32_e32 v5, v5, v9
	;; [unrolled: 1-line block ×8, first 2 shown]
	v_sub_f32_e32 v5, v6, v10
	v_sub_f32_e32 v7, v18, v14
	v_add_f32_e32 v5, v5, v7
	v_add_f32_e32 v7, v10, v14
	v_fma_f32 v17, -0.5, v7, v27
	v_mov_b32_e32 v19, v17
	v_fmac_f32_e32 v19, 0x3f737871, v38
	v_fmac_f32_e32 v17, 0xbf737871, v38
	;; [unrolled: 1-line block ×4, first 2 shown]
	v_mov_b32_e32 v57, v56
	v_mov_b32_e32 v60, v59
	v_fmac_f32_e32 v56, 0xbf737871, v48
	v_fmac_f32_e32 v59, 0x3f737871, v50
	;; [unrolled: 1-line block ×4, first 2 shown]
	v_add_f32_e32 v5, v27, v6
	v_add_f32_e32 v4, v4, v8
	v_fmac_f32_e32 v60, 0xbf737871, v50
	v_fmac_f32_e32 v56, 0xbf167918, v47
	;; [unrolled: 1-line block ×3, first 2 shown]
	v_add_f32_e32 v5, v5, v10
	v_add_f32_e32 v4, v4, v12
	v_mov_b32_e32 v54, v53
	v_fmac_f32_e32 v57, 0x3f737871, v48
	v_fmac_f32_e32 v60, 0xbf167918, v49
	;; [unrolled: 1-line block ×5, first 2 shown]
	v_add_f32_e32 v5, v5, v14
	v_add_f32_e32 v4, v4, v16
	v_fmac_f32_e32 v54, 0xbf737871, v43
	v_fmac_f32_e32 v57, 0x3f167918, v47
	;; [unrolled: 1-line block ×4, first 2 shown]
	v_mul_f32_e32 v47, 0x3f167918, v56
	v_mul_f32_e32 v37, 0xbf167918, v59
	v_add_f32_e32 v14, v5, v18
	v_add_f32_e32 v12, v4, v0
	v_fmac_f32_e32 v54, 0xbf167918, v42
	v_fmac_f32_e32 v57, 0x3e9e377a, v55
	v_mul_f32_e32 v61, 0xbf4f1bbd, v60
	v_fmac_f32_e32 v53, 0x3e9e377a, v52
	v_fmac_f32_e32 v47, 0x3f4f1bbd, v59
	v_mul_f32_e32 v28, 0xbf167918, v60
	v_fmac_f32_e32 v37, 0x3f4f1bbd, v56
	v_sub_f32_e32 v0, v14, v12
	v_add_f32_e32 v12, v14, v12
	v_mul_u32_u24_e32 v14, 0x48, v24
	v_fmac_f32_e32 v54, 0x3e9e377a, v52
	v_fmac_f32_e32 v61, 0x3f167918, v57
	v_sub_f32_e32 v1, v15, v13
	v_fmac_f32_e32 v28, 0xbf4f1bbd, v57
	v_add_f32_e32 v11, v53, v47
	v_add_f32_e32 v13, v15, v13
	;; [unrolled: 1-line block ×3, first 2 shown]
	v_add3_u32 v14, v32, v14, v33
	v_sub_f32_e32 v51, v54, v61
	v_sub_f32_e32 v43, v53, v47
	;; [unrolled: 1-line block ×4, first 2 shown]
	v_add_f32_e32 v5, v54, v61
	v_add_f32_e32 v7, v39, v46
	;; [unrolled: 1-line block ×6, first 2 shown]
	ds_write2_b64 v14, v[12:13], v[10:11] offset1:1
	ds_write2_b64 v14, v[8:9], v[6:7] offset0:2 offset1:3
	ds_write2_b64 v14, v[4:5], v[0:1] offset0:4 offset1:5
	;; [unrolled: 1-line block ×4, first 2 shown]
.LBB0_15:
	s_or_b64 exec, exec, s[2:3]
	s_movk_i32 s0, 0xcd
	v_mul_lo_u16_sdwa v0, v24, s0 dst_sel:DWORD dst_unused:UNUSED_PAD src0_sel:BYTE_0 src1_sel:DWORD
	v_lshrrev_b16_e32 v27, 11, v0
	v_mul_lo_u16_e32 v0, 10, v27
	v_sub_u16_e32 v28, v24, v0
	v_mov_b32_e32 v0, 6
	v_mul_u32_u24_sdwa v0, v28, v0 dst_sel:DWORD dst_unused:UNUSED_PAD src0_sel:BYTE_0 src1_sel:DWORD
	v_lshlrev_b32_e32 v0, 3, v0
	s_load_dwordx2 s[4:5], s[4:5], 0x0
	s_waitcnt lgkmcnt(0)
	; wave barrier
	s_waitcnt lgkmcnt(0)
	global_load_dwordx4 v[4:7], v0, s[12:13]
	global_load_dwordx4 v[8:11], v0, s[12:13] offset:16
	global_load_dwordx4 v[12:15], v0, s[12:13] offset:32
	ds_read_b64 v[0:1], v34
	ds_read2_b64 v[16:19], v29 offset0:30 offset1:60
	ds_read2_b64 v[35:38], v29 offset0:90 offset1:120
	;; [unrolled: 1-line block ×3, first 2 shown]
	s_mov_b32 s1, 0x3f3bfb3b
	s_mov_b32 s2, 0xbf3bfb3b
	;; [unrolled: 1-line block ×3, first 2 shown]
	s_waitcnt lgkmcnt(0)
	; wave barrier
	s_waitcnt vmcnt(2) lgkmcnt(0)
	v_mul_f32_e32 v43, v5, v17
	v_mul_f32_e32 v5, v5, v16
	;; [unrolled: 1-line block ×4, first 2 shown]
	s_waitcnt vmcnt(1)
	v_mul_f32_e32 v45, v9, v36
	v_mul_f32_e32 v9, v9, v35
	s_waitcnt vmcnt(0)
	v_mul_f32_e32 v47, v13, v40
	v_mul_f32_e32 v48, v15, v42
	;; [unrolled: 1-line block ×6, first 2 shown]
	v_fmac_f32_e32 v43, v4, v16
	v_fma_f32 v4, v4, v17, -v5
	v_fmac_f32_e32 v44, v6, v18
	v_fma_f32 v5, v6, v19, -v7
	v_fma_f32 v6, v8, v36, -v9
	v_fmac_f32_e32 v47, v12, v39
	v_fmac_f32_e32 v48, v14, v41
	v_fma_f32 v9, v14, v42, -v15
	v_fmac_f32_e32 v45, v8, v35
	v_fmac_f32_e32 v46, v10, v37
	v_fma_f32 v7, v10, v38, -v11
	v_fma_f32 v8, v12, v40, -v13
	v_add_f32_e32 v10, v43, v48
	v_add_f32_e32 v11, v4, v9
	v_sub_f32_e32 v4, v4, v9
	v_add_f32_e32 v9, v44, v47
	v_add_f32_e32 v13, v5, v8
	v_sub_f32_e32 v5, v5, v8
	;; [unrolled: 3-line block ×3, first 2 shown]
	v_add_f32_e32 v7, v9, v10
	v_sub_f32_e32 v14, v44, v47
	v_sub_f32_e32 v16, v46, v45
	v_add_f32_e32 v17, v13, v11
	v_sub_f32_e32 v18, v9, v10
	v_sub_f32_e32 v10, v10, v8
	v_sub_f32_e32 v9, v8, v9
	v_add_f32_e32 v36, v6, v5
	v_add_f32_e32 v7, v8, v7
	v_sub_f32_e32 v12, v43, v48
	v_sub_f32_e32 v19, v13, v11
	;; [unrolled: 1-line block ×8, first 2 shown]
	v_add_f32_e32 v8, v15, v17
	v_add_f32_e32 v15, v36, v4
	v_mul_f32_e32 v10, 0x3f4a47b2, v10
	v_mul_f32_e32 v17, 0x3d64c772, v9
	v_add_f32_e32 v4, v7, v0
	v_add_f32_e32 v35, v16, v14
	v_sub_f32_e32 v14, v14, v12
	v_mul_f32_e32 v11, 0x3f4a47b2, v11
	v_mul_f32_e32 v36, 0x3f08b237, v37
	;; [unrolled: 1-line block ×3, first 2 shown]
	v_fma_f32 v0, v18, s1, -v17
	v_fma_f32 v17, v18, s2, -v10
	v_fmac_f32_e32 v10, 0x3d64c772, v9
	v_mov_b32_e32 v9, v4
	v_sub_f32_e32 v16, v12, v16
	v_add_f32_e32 v12, v35, v12
	v_mul_f32_e32 v35, 0x3d64c772, v13
	v_mul_f32_e32 v38, 0xbf5ff5aa, v14
	;; [unrolled: 1-line block ×3, first 2 shown]
	v_add_f32_e32 v5, v8, v1
	v_fmac_f32_e32 v9, 0xbf955555, v7
	v_fma_f32 v7, v19, s2, -v11
	v_fmac_f32_e32 v11, 0x3d64c772, v13
	v_fma_f32 v13, v14, s0, -v36
	v_fma_f32 v14, v39, s0, -v37
	s_mov_b32 s0, 0x3eae86e6
	v_fma_f32 v1, v19, s1, -v35
	v_mov_b32_e32 v18, v5
	v_fma_f32 v19, v6, s0, -v40
	v_fmac_f32_e32 v18, 0xbf955555, v8
	v_fmac_f32_e32 v36, 0xbeae86e6, v16
	v_fma_f32 v16, v16, s0, -v38
	v_add_f32_e32 v0, v0, v9
	v_add_f32_e32 v17, v17, v9
	v_fmac_f32_e32 v14, 0xbee1c552, v15
	v_fmac_f32_e32 v19, 0xbee1c552, v15
	;; [unrolled: 1-line block ×3, first 2 shown]
	v_add_f32_e32 v35, v10, v9
	v_add_f32_e32 v38, v11, v18
	;; [unrolled: 1-line block ×4, first 2 shown]
	v_fmac_f32_e32 v36, 0xbee1c552, v12
	v_fmac_f32_e32 v13, 0xbee1c552, v12
	;; [unrolled: 1-line block ×3, first 2 shown]
	v_add_f32_e32 v8, v19, v17
	v_sub_f32_e32 v10, v0, v14
	v_add_f32_e32 v12, v14, v0
	v_sub_f32_e32 v14, v17, v19
	s_movk_i32 s0, 0x230
	v_mov_b32_e32 v17, 3
	v_fmac_f32_e32 v37, 0xbee1c552, v15
	v_sub_f32_e32 v9, v18, v16
	v_add_f32_e32 v15, v16, v18
	v_mad_u32_u24 v16, v27, s0, 0
	v_lshlrev_b32_sdwa v17, v17, v28 dst_sel:DWORD dst_unused:UNUSED_PAD src0_sel:DWORD src1_sel:BYTE_0
	v_add_f32_e32 v6, v37, v35
	v_sub_f32_e32 v7, v38, v36
	v_add_f32_e32 v11, v13, v1
	v_sub_f32_e32 v13, v1, v13
	v_add3_u32 v16, v16, v17, v33
	v_sub_f32_e32 v0, v35, v37
	v_add_f32_e32 v1, v36, v38
	ds_write2_b64 v16, v[4:5], v[6:7] offset1:10
	ds_write2_b64 v16, v[8:9], v[10:11] offset0:20 offset1:30
	ds_write2_b64 v16, v[12:13], v[14:15] offset0:40 offset1:50
	ds_write_b64 v16, v[0:1] offset:480
	s_waitcnt lgkmcnt(0)
	; wave barrier
	s_waitcnt lgkmcnt(0)
	ds_read2_b64 v[4:7], v29 offset0:30 offset1:70
	ds_read2_b64 v[8:11], v29 offset0:100 offset1:140
	ds_read_b64 v[12:13], v34
	ds_read_b64 v[16:17], v29 offset:1360
	v_cmp_gt_u32_e64 s[0:1], 10, v24
	s_and_saveexec_b64 s[2:3], s[0:1]
	s_cbranch_execz .LBB0_17
; %bb.16:
	ds_read2_b64 v[0:3], v29 offset0:60 offset1:130
	ds_read_b64 v[25:26], v29 offset:1600
.LBB0_17:
	s_or_b64 exec, exec, s[2:3]
	v_lshlrev_b32_e32 v14, 1, v24
	v_mov_b32_e32 v15, 0
	v_lshlrev_b64 v[18:19], 3, v[14:15]
	v_mov_b32_e32 v27, s13
	v_add_co_u32_e64 v18, s[2:3], s12, v18
	v_addc_co_u32_e64 v19, s[2:3], v27, v19, s[2:3]
	v_add_u32_e32 v14, 60, v14
	global_load_dwordx4 v[33:36], v[18:19], off offset:480
	v_lshlrev_b64 v[18:19], 3, v[14:15]
	v_lshl_add_u32 v14, v31, 3, v32
	v_add_co_u32_e64 v18, s[2:3], s12, v18
	v_addc_co_u32_e64 v19, s[2:3], v27, v19, s[2:3]
	global_load_dwordx4 v[37:40], v[18:19], off offset:480
	s_waitcnt lgkmcnt(0)
	; wave barrier
	s_waitcnt vmcnt(1) lgkmcnt(0)
	v_mul_f32_e32 v18, v34, v7
	v_mul_f32_e32 v19, v34, v6
	;; [unrolled: 1-line block ×4, first 2 shown]
	v_fmac_f32_e32 v18, v33, v6
	v_fma_f32 v6, v33, v7, -v19
	v_fmac_f32_e32 v27, v35, v10
	v_fma_f32 v7, v35, v11, -v28
	s_waitcnt vmcnt(0)
	v_mul_f32_e32 v10, v38, v9
	v_mul_f32_e32 v11, v38, v8
	;; [unrolled: 1-line block ×4, first 2 shown]
	v_fmac_f32_e32 v10, v37, v8
	v_fma_f32 v8, v37, v9, -v11
	v_fmac_f32_e32 v19, v39, v16
	v_fma_f32 v11, v39, v17, -v28
	v_add_f32_e32 v9, v18, v12
	v_add_f32_e32 v16, v18, v27
	;; [unrolled: 1-line block ×3, first 2 shown]
	v_sub_f32_e32 v17, v6, v7
	v_add_f32_e32 v28, v6, v13
	v_sub_f32_e32 v18, v18, v27
	v_add_f32_e32 v6, v9, v27
	v_fma_f32 v12, -0.5, v16, v12
	v_fmac_f32_e32 v13, -0.5, v31
	v_add_f32_e32 v27, v10, v19
	v_add_f32_e32 v32, v8, v11
	;; [unrolled: 1-line block ×4, first 2 shown]
	v_sub_f32_e32 v28, v8, v11
	v_add_f32_e32 v31, v5, v8
	v_mov_b32_e32 v8, v12
	v_mov_b32_e32 v9, v13
	v_fma_f32 v4, -0.5, v27, v4
	v_fmac_f32_e32 v5, -0.5, v32
	v_sub_f32_e32 v33, v10, v19
	v_fmac_f32_e32 v12, 0x3f5db3d7, v17
	v_fmac_f32_e32 v13, 0xbf5db3d7, v18
	v_add_f32_e32 v10, v16, v19
	v_fmac_f32_e32 v8, 0xbf5db3d7, v17
	v_fmac_f32_e32 v9, 0x3f5db3d7, v18
	v_mov_b32_e32 v16, v4
	v_mov_b32_e32 v17, v5
	v_add_f32_e32 v11, v31, v11
	v_fmac_f32_e32 v4, 0x3f5db3d7, v28
	v_fmac_f32_e32 v5, 0xbf5db3d7, v33
	;; [unrolled: 1-line block ×4, first 2 shown]
	ds_write2_b64 v29, v[8:9], v[12:13] offset0:70 offset1:140
	ds_write2_b64 v29, v[6:7], v[10:11] offset1:30
	ds_write2_b64 v14, v[16:17], v[4:5] offset0:100 offset1:170
	s_and_saveexec_b64 s[2:3], s[0:1]
	s_cbranch_execz .LBB0_19
; %bb.18:
	v_cndmask_b32_e64 v4, -10, 60, s[0:1]
	v_add_lshl_u32 v14, v24, v4, 1
	v_lshlrev_b64 v[4:5], 3, v[14:15]
	v_mov_b32_e32 v6, s13
	v_add_co_u32_e64 v4, s[0:1], s12, v4
	v_addc_co_u32_e64 v5, s[0:1], v6, v5, s[0:1]
	global_load_dwordx4 v[4:7], v[4:5], off offset:480
	s_waitcnt vmcnt(0)
	v_mul_f32_e32 v8, v2, v5
	v_mul_f32_e32 v9, v25, v7
	;; [unrolled: 1-line block ×4, first 2 shown]
	v_fma_f32 v3, v3, v4, -v8
	v_fma_f32 v8, v26, v6, -v9
	v_fmac_f32_e32 v5, v2, v4
	v_fmac_f32_e32 v7, v25, v6
	v_add_f32_e32 v2, v3, v8
	v_add_f32_e32 v9, v5, v7
	v_sub_f32_e32 v6, v5, v7
	v_add_f32_e32 v4, v1, v3
	v_sub_f32_e32 v10, v3, v8
	v_add_f32_e32 v5, v0, v5
	v_fma_f32 v1, -0.5, v2, v1
	v_fma_f32 v0, -0.5, v9, v0
	v_add_f32_e32 v3, v4, v8
	v_add_f32_e32 v2, v5, v7
	v_mov_b32_e32 v5, v1
	v_fmac_f32_e32 v1, 0x3f5db3d7, v6
	v_mov_b32_e32 v4, v0
	v_fmac_f32_e32 v0, 0xbf5db3d7, v10
	v_fmac_f32_e32 v5, 0xbf5db3d7, v6
	;; [unrolled: 1-line block ×3, first 2 shown]
	ds_write2_b64 v29, v[2:3], v[0:1] offset0:60 offset1:130
	ds_write_b64 v29, v[4:5] offset:1600
.LBB0_19:
	s_or_b64 exec, exec, s[2:3]
	s_waitcnt lgkmcnt(0)
	; wave barrier
	s_waitcnt lgkmcnt(0)
	s_and_saveexec_b64 s[0:1], vcc
	s_cbranch_execz .LBB0_21
; %bb.20:
	v_mul_lo_u32 v0, s5, v22
	v_mul_lo_u32 v1, s4, v23
	v_mad_u64_u32 v[4:5], s[0:1], s4, v22, 0
	v_mov_b32_e32 v7, s11
	v_lshl_add_u32 v6, v24, 3, v30
	v_add3_u32 v5, v5, v1, v0
	v_lshlrev_b64 v[4:5], 3, v[4:5]
	v_mov_b32_e32 v25, 0
	v_add_co_u32_e32 v8, vcc, s10, v4
	v_addc_co_u32_e32 v7, vcc, v7, v5, vcc
	v_lshlrev_b64 v[4:5], 3, v[20:21]
	ds_read2_b64 v[0:3], v6 offset1:30
	v_add_co_u32_e32 v8, vcc, v8, v4
	v_addc_co_u32_e32 v7, vcc, v7, v5, vcc
	v_lshlrev_b64 v[4:5], 3, v[24:25]
	v_add_co_u32_e32 v4, vcc, v8, v4
	v_addc_co_u32_e32 v5, vcc, v7, v5, vcc
	s_waitcnt lgkmcnt(0)
	global_store_dwordx2 v[4:5], v[0:1], off
	v_add_u32_e32 v0, 30, v24
	v_mov_b32_e32 v1, v25
	v_lshlrev_b64 v[0:1], 3, v[0:1]
	v_add_u32_e32 v4, 60, v24
	v_add_co_u32_e32 v0, vcc, v8, v0
	v_addc_co_u32_e32 v1, vcc, v7, v1, vcc
	global_store_dwordx2 v[0:1], v[2:3], off
	v_mov_b32_e32 v5, v25
	ds_read2_b64 v[0:3], v6 offset0:60 offset1:90
	v_lshlrev_b64 v[4:5], 3, v[4:5]
	v_add_co_u32_e32 v4, vcc, v8, v4
	v_addc_co_u32_e32 v5, vcc, v7, v5, vcc
	s_waitcnt lgkmcnt(0)
	global_store_dwordx2 v[4:5], v[0:1], off
	v_add_u32_e32 v0, 0x5a, v24
	v_mov_b32_e32 v1, v25
	v_lshlrev_b64 v[0:1], 3, v[0:1]
	v_add_u32_e32 v4, 0x78, v24
	v_add_co_u32_e32 v0, vcc, v8, v0
	v_addc_co_u32_e32 v1, vcc, v7, v1, vcc
	global_store_dwordx2 v[0:1], v[2:3], off
	v_mov_b32_e32 v5, v25
	ds_read2_b64 v[0:3], v6 offset0:120 offset1:150
	v_lshlrev_b64 v[4:5], 3, v[4:5]
	v_add_co_u32_e32 v4, vcc, v8, v4
	v_addc_co_u32_e32 v5, vcc, v7, v5, vcc
	s_waitcnt lgkmcnt(0)
	global_store_dwordx2 v[4:5], v[0:1], off
	v_add_u32_e32 v0, 0x96, v24
	v_mov_b32_e32 v1, v25
	v_lshlrev_b64 v[0:1], 3, v[0:1]
	v_add_u32_e32 v24, 0xb4, v24
	v_add_co_u32_e32 v0, vcc, v8, v0
	v_addc_co_u32_e32 v1, vcc, v7, v1, vcc
	global_store_dwordx2 v[0:1], v[2:3], off
	ds_read_b64 v[0:1], v6 offset:1440
	v_lshlrev_b64 v[2:3], 3, v[24:25]
	v_add_co_u32_e32 v2, vcc, v8, v2
	v_addc_co_u32_e32 v3, vcc, v7, v3, vcc
	s_waitcnt lgkmcnt(0)
	global_store_dwordx2 v[2:3], v[0:1], off
.LBB0_21:
	s_endpgm
	.section	.rodata,"a",@progbits
	.p2align	6, 0x0
	.amdhsa_kernel fft_rtc_back_len210_factors_10_7_3_wgs_60_tpt_30_sp_op_CI_CI_unitstride_sbrr_dirReg
		.amdhsa_group_segment_fixed_size 0
		.amdhsa_private_segment_fixed_size 0
		.amdhsa_kernarg_size 104
		.amdhsa_user_sgpr_count 6
		.amdhsa_user_sgpr_private_segment_buffer 1
		.amdhsa_user_sgpr_dispatch_ptr 0
		.amdhsa_user_sgpr_queue_ptr 0
		.amdhsa_user_sgpr_kernarg_segment_ptr 1
		.amdhsa_user_sgpr_dispatch_id 0
		.amdhsa_user_sgpr_flat_scratch_init 0
		.amdhsa_user_sgpr_private_segment_size 0
		.amdhsa_uses_dynamic_stack 0
		.amdhsa_system_sgpr_private_segment_wavefront_offset 0
		.amdhsa_system_sgpr_workgroup_id_x 1
		.amdhsa_system_sgpr_workgroup_id_y 0
		.amdhsa_system_sgpr_workgroup_id_z 0
		.amdhsa_system_sgpr_workgroup_info 0
		.amdhsa_system_vgpr_workitem_id 0
		.amdhsa_next_free_vgpr 62
		.amdhsa_next_free_sgpr 28
		.amdhsa_reserve_vcc 1
		.amdhsa_reserve_flat_scratch 0
		.amdhsa_float_round_mode_32 0
		.amdhsa_float_round_mode_16_64 0
		.amdhsa_float_denorm_mode_32 3
		.amdhsa_float_denorm_mode_16_64 3
		.amdhsa_dx10_clamp 1
		.amdhsa_ieee_mode 1
		.amdhsa_fp16_overflow 0
		.amdhsa_exception_fp_ieee_invalid_op 0
		.amdhsa_exception_fp_denorm_src 0
		.amdhsa_exception_fp_ieee_div_zero 0
		.amdhsa_exception_fp_ieee_overflow 0
		.amdhsa_exception_fp_ieee_underflow 0
		.amdhsa_exception_fp_ieee_inexact 0
		.amdhsa_exception_int_div_zero 0
	.end_amdhsa_kernel
	.text
.Lfunc_end0:
	.size	fft_rtc_back_len210_factors_10_7_3_wgs_60_tpt_30_sp_op_CI_CI_unitstride_sbrr_dirReg, .Lfunc_end0-fft_rtc_back_len210_factors_10_7_3_wgs_60_tpt_30_sp_op_CI_CI_unitstride_sbrr_dirReg
                                        ; -- End function
	.section	.AMDGPU.csdata,"",@progbits
; Kernel info:
; codeLenInByte = 4372
; NumSgprs: 32
; NumVgprs: 62
; ScratchSize: 0
; MemoryBound: 0
; FloatMode: 240
; IeeeMode: 1
; LDSByteSize: 0 bytes/workgroup (compile time only)
; SGPRBlocks: 3
; VGPRBlocks: 15
; NumSGPRsForWavesPerEU: 32
; NumVGPRsForWavesPerEU: 62
; Occupancy: 4
; WaveLimiterHint : 1
; COMPUTE_PGM_RSRC2:SCRATCH_EN: 0
; COMPUTE_PGM_RSRC2:USER_SGPR: 6
; COMPUTE_PGM_RSRC2:TRAP_HANDLER: 0
; COMPUTE_PGM_RSRC2:TGID_X_EN: 1
; COMPUTE_PGM_RSRC2:TGID_Y_EN: 0
; COMPUTE_PGM_RSRC2:TGID_Z_EN: 0
; COMPUTE_PGM_RSRC2:TIDIG_COMP_CNT: 0
	.type	__hip_cuid_88f6e385e2a4fe9d,@object ; @__hip_cuid_88f6e385e2a4fe9d
	.section	.bss,"aw",@nobits
	.globl	__hip_cuid_88f6e385e2a4fe9d
__hip_cuid_88f6e385e2a4fe9d:
	.byte	0                               ; 0x0
	.size	__hip_cuid_88f6e385e2a4fe9d, 1

	.ident	"AMD clang version 19.0.0git (https://github.com/RadeonOpenCompute/llvm-project roc-6.4.0 25133 c7fe45cf4b819c5991fe208aaa96edf142730f1d)"
	.section	".note.GNU-stack","",@progbits
	.addrsig
	.addrsig_sym __hip_cuid_88f6e385e2a4fe9d
	.amdgpu_metadata
---
amdhsa.kernels:
  - .args:
      - .actual_access:  read_only
        .address_space:  global
        .offset:         0
        .size:           8
        .value_kind:     global_buffer
      - .offset:         8
        .size:           8
        .value_kind:     by_value
      - .actual_access:  read_only
        .address_space:  global
        .offset:         16
        .size:           8
        .value_kind:     global_buffer
      - .actual_access:  read_only
        .address_space:  global
        .offset:         24
        .size:           8
        .value_kind:     global_buffer
      - .actual_access:  read_only
        .address_space:  global
        .offset:         32
        .size:           8
        .value_kind:     global_buffer
      - .offset:         40
        .size:           8
        .value_kind:     by_value
      - .actual_access:  read_only
        .address_space:  global
        .offset:         48
        .size:           8
        .value_kind:     global_buffer
      - .actual_access:  read_only
        .address_space:  global
        .offset:         56
        .size:           8
        .value_kind:     global_buffer
      - .offset:         64
        .size:           4
        .value_kind:     by_value
      - .actual_access:  read_only
        .address_space:  global
        .offset:         72
        .size:           8
        .value_kind:     global_buffer
      - .actual_access:  read_only
        .address_space:  global
        .offset:         80
        .size:           8
        .value_kind:     global_buffer
      - .actual_access:  read_only
        .address_space:  global
        .offset:         88
        .size:           8
        .value_kind:     global_buffer
      - .actual_access:  write_only
        .address_space:  global
        .offset:         96
        .size:           8
        .value_kind:     global_buffer
    .group_segment_fixed_size: 0
    .kernarg_segment_align: 8
    .kernarg_segment_size: 104
    .language:       OpenCL C
    .language_version:
      - 2
      - 0
    .max_flat_workgroup_size: 60
    .name:           fft_rtc_back_len210_factors_10_7_3_wgs_60_tpt_30_sp_op_CI_CI_unitstride_sbrr_dirReg
    .private_segment_fixed_size: 0
    .sgpr_count:     32
    .sgpr_spill_count: 0
    .symbol:         fft_rtc_back_len210_factors_10_7_3_wgs_60_tpt_30_sp_op_CI_CI_unitstride_sbrr_dirReg.kd
    .uniform_work_group_size: 1
    .uses_dynamic_stack: false
    .vgpr_count:     62
    .vgpr_spill_count: 0
    .wavefront_size: 64
amdhsa.target:   amdgcn-amd-amdhsa--gfx906
amdhsa.version:
  - 1
  - 2
...

	.end_amdgpu_metadata
